;; amdgpu-corpus repo=zjin-lcf/HeCBench kind=compiled arch=gfx906 opt=O3
	.amdgcn_target "amdgcn-amd-amdhsa--gfx906"
	.amdhsa_code_object_version 6
	.text
	.protected	_Z7computePKjS0_PKmS2_S0_PjS3_ ; -- Begin function _Z7computePKjS0_PKmS2_S0_PjS3_
	.globl	_Z7computePKjS0_PKmS2_S0_PjS3_
	.p2align	8
	.type	_Z7computePKjS0_PKmS2_S0_PjS3_,@function
_Z7computePKjS0_PKmS2_S0_PjS3_:         ; @_Z7computePKjS0_PKmS2_S0_PjS3_
; %bb.0:
	s_load_dword s7, s[4:5], 0x44
	s_load_dwordx2 s[2:3], s[4:5], 0x0
	s_load_dwordx2 s[8:9], s[4:5], 0x10
	;; [unrolled: 1-line block ×3, first 2 shown]
	v_mov_b32_e32 v2, 0
	s_waitcnt lgkmcnt(0)
	s_and_b32 s7, s7, 0xffff
	s_mul_i32 s7, s6, s7
	v_add_lshl_u32 v1, s7, v0, 3
	v_lshlrev_b64 v[3:4], 2, v[1:2]
	v_mov_b32_e32 v1, s3
	v_add_co_u32_e32 v5, vcc, s2, v3
	v_addc_co_u32_e32 v6, vcc, v1, v4, vcc
	global_load_dword v7, v[5:6], off
	v_mov_b32_e32 v1, 0
	v_mov_b32_e32 v2, 0
	s_waitcnt vmcnt(0)
	v_cmp_ne_u32_e32 vcc, -1, v7
	s_and_saveexec_b64 s[2:3], vcc
	s_cbranch_execz .LBB0_6
; %bb.1:
	s_mov_b32 s7, 0xfffc
	v_and_b32_sdwa v1, v7, s7 dst_sel:DWORD dst_unused:UNUSED_PAD src0_sel:WORD_1 src1_sel:DWORD
	global_load_dword v1, v1, s[0:1]
	v_lshrrev_b32_e32 v2, 13, v7
	s_waitcnt vmcnt(0)
	v_lshrrev_b32_e32 v1, v2, v1
	v_and_b32_e32 v8, 1, v1
	v_mov_b32_e32 v1, 0
	v_mov_b32_e32 v2, 0
	v_cmp_eq_u32_e32 vcc, 1, v8
	s_and_saveexec_b64 s[10:11], vcc
	s_cbranch_execz .LBB0_5
; %bb.2:
	v_lshrrev_b32_e32 v1, 11, v7
	v_and_b32_e32 v1, 0xfffc, v1
	global_load_dword v1, v1, s[0:1]
	v_lshrrev_b32_e32 v2, 8, v7
	s_waitcnt vmcnt(0)
	v_lshrrev_b32_e32 v1, v2, v1
	v_and_b32_e32 v8, 1, v1
	v_mov_b32_e32 v1, 0
	v_mov_b32_e32 v2, 0
	v_cmp_eq_u32_e32 vcc, 1, v8
	s_and_saveexec_b64 s[12:13], vcc
	s_cbranch_execz .LBB0_4
; %bb.3:
	v_lshrrev_b32_e32 v1, 5, v7
	v_and_b32_e32 v1, 0x7fffff8, v1
	global_load_dwordx2 v[1:2], v1, s[8:9]
	v_mov_b32_e32 v8, 0
	s_waitcnt vmcnt(0)
	v_and_b32_e32 v9, 0xfffff, v1
	v_alignbit_b32 v1, v2, v1, 24
	v_mul_u32_u24_sdwa v9, v9, v7 dst_sel:DWORD dst_unused:UNUSED_PAD src0_sel:DWORD src1_sel:BYTE_0
	v_mul_u32_u24_sdwa v7, v1, v7 dst_sel:DWORD dst_unused:UNUSED_PAD src0_sel:WORD_0 src1_sel:BYTE_0
	v_lshlrev_b64 v[1:2], 24, v[7:8]
	v_add_co_u32_e32 v1, vcc, v1, v9
	v_addc_co_u32_e32 v2, vcc, 0, v2, vcc
.LBB0_4:
	s_or_b64 exec, exec, s[12:13]
.LBB0_5:
	s_or_b64 exec, exec, s[10:11]
.LBB0_6:
	s_or_b64 exec, exec, s[2:3]
	global_load_dword v7, v[5:6], off offset:4
	s_waitcnt vmcnt(0)
	v_cmp_ne_u32_e32 vcc, -1, v7
	s_and_saveexec_b64 s[2:3], vcc
	s_cbranch_execz .LBB0_12
; %bb.7:
	s_mov_b32 s7, 0xfffc
	v_and_b32_sdwa v8, v7, s7 dst_sel:DWORD dst_unused:UNUSED_PAD src0_sel:WORD_1 src1_sel:DWORD
	global_load_dword v8, v8, s[0:1]
	v_lshrrev_b32_e32 v9, 13, v7
	s_waitcnt vmcnt(0)
	v_lshrrev_b32_e32 v8, v9, v8
	v_and_b32_e32 v8, 1, v8
	v_cmp_eq_u32_e32 vcc, 1, v8
	s_and_saveexec_b64 s[10:11], vcc
	s_cbranch_execz .LBB0_11
; %bb.8:
	v_lshrrev_b32_e32 v8, 11, v7
	v_and_b32_e32 v8, 0xfffc, v8
	global_load_dword v8, v8, s[0:1]
	v_lshrrev_b32_e32 v9, 8, v7
	s_waitcnt vmcnt(0)
	v_lshrrev_b32_e32 v8, v9, v8
	v_and_b32_e32 v8, 1, v8
	v_cmp_eq_u32_e32 vcc, 1, v8
	s_and_saveexec_b64 s[12:13], vcc
	s_cbranch_execz .LBB0_10
; %bb.9:
	v_lshrrev_b32_e32 v8, 5, v7
	v_and_b32_e32 v8, 0x7fffff8, v8
	global_load_dwordx2 v[8:9], v8, s[8:9]
	v_mov_b32_e32 v10, 0
	s_waitcnt vmcnt(0)
	v_and_b32_e32 v11, 0xfffff, v8
	v_alignbit_b32 v8, v9, v8, 24
	v_mul_u32_u24_sdwa v11, v11, v7 dst_sel:DWORD dst_unused:UNUSED_PAD src0_sel:DWORD src1_sel:BYTE_0
	v_mul_u32_u24_sdwa v9, v8, v7 dst_sel:DWORD dst_unused:UNUSED_PAD src0_sel:WORD_0 src1_sel:BYTE_0
	v_lshlrev_b64 v[7:8], 24, v[9:10]
	v_add_co_u32_e32 v1, vcc, v1, v11
	v_addc_co_u32_e32 v2, vcc, 0, v2, vcc
	v_add_co_u32_e32 v1, vcc, v1, v7
	v_addc_co_u32_e32 v2, vcc, v2, v8, vcc
.LBB0_10:
	s_or_b64 exec, exec, s[12:13]
.LBB0_11:
	s_or_b64 exec, exec, s[10:11]
.LBB0_12:
	s_or_b64 exec, exec, s[2:3]
	global_load_dword v7, v[5:6], off offset:8
	s_waitcnt vmcnt(0)
	v_cmp_ne_u32_e32 vcc, -1, v7
	s_and_saveexec_b64 s[2:3], vcc
	s_cbranch_execz .LBB0_18
; %bb.13:
	s_mov_b32 s7, 0xfffc
	v_and_b32_sdwa v8, v7, s7 dst_sel:DWORD dst_unused:UNUSED_PAD src0_sel:WORD_1 src1_sel:DWORD
	global_load_dword v8, v8, s[0:1]
	v_lshrrev_b32_e32 v9, 13, v7
	s_waitcnt vmcnt(0)
	v_lshrrev_b32_e32 v8, v9, v8
	v_and_b32_e32 v8, 1, v8
	v_cmp_eq_u32_e32 vcc, 1, v8
	s_and_saveexec_b64 s[10:11], vcc
	s_cbranch_execz .LBB0_17
; %bb.14:
	v_lshrrev_b32_e32 v8, 11, v7
	v_and_b32_e32 v8, 0xfffc, v8
	global_load_dword v8, v8, s[0:1]
	v_lshrrev_b32_e32 v9, 8, v7
	s_waitcnt vmcnt(0)
	v_lshrrev_b32_e32 v8, v9, v8
	v_and_b32_e32 v8, 1, v8
	v_cmp_eq_u32_e32 vcc, 1, v8
	s_and_saveexec_b64 s[12:13], vcc
	s_cbranch_execz .LBB0_16
; %bb.15:
	v_lshrrev_b32_e32 v8, 5, v7
	v_and_b32_e32 v8, 0x7fffff8, v8
	global_load_dwordx2 v[8:9], v8, s[8:9]
	v_mov_b32_e32 v10, 0
	s_waitcnt vmcnt(0)
	v_and_b32_e32 v11, 0xfffff, v8
	v_alignbit_b32 v8, v9, v8, 24
	v_mul_u32_u24_sdwa v11, v11, v7 dst_sel:DWORD dst_unused:UNUSED_PAD src0_sel:DWORD src1_sel:BYTE_0
	v_mul_u32_u24_sdwa v9, v8, v7 dst_sel:DWORD dst_unused:UNUSED_PAD src0_sel:WORD_0 src1_sel:BYTE_0
	v_lshlrev_b64 v[7:8], 24, v[9:10]
	v_add_co_u32_e32 v1, vcc, v1, v11
	v_addc_co_u32_e32 v2, vcc, 0, v2, vcc
	v_add_co_u32_e32 v1, vcc, v1, v7
	v_addc_co_u32_e32 v2, vcc, v2, v8, vcc
.LBB0_16:
	s_or_b64 exec, exec, s[12:13]
.LBB0_17:
	s_or_b64 exec, exec, s[10:11]
.LBB0_18:
	;; [unrolled: 48-line block ×5, first 2 shown]
	s_or_b64 exec, exec, s[2:3]
	global_load_dword v7, v[5:6], off offset:24
	s_load_dwordx2 s[10:11], s[4:5], 0x8
	s_waitcnt vmcnt(0)
	v_cmp_ne_u32_e32 vcc, -1, v7
	s_and_saveexec_b64 s[2:3], vcc
	s_cbranch_execz .LBB0_42
; %bb.37:
	s_mov_b32 s7, 0xfffc
	v_and_b32_sdwa v8, v7, s7 dst_sel:DWORD dst_unused:UNUSED_PAD src0_sel:WORD_1 src1_sel:DWORD
	global_load_dword v8, v8, s[0:1]
	v_lshrrev_b32_e32 v9, 13, v7
	s_waitcnt vmcnt(0)
	v_lshrrev_b32_e32 v8, v9, v8
	v_and_b32_e32 v8, 1, v8
	v_cmp_eq_u32_e32 vcc, 1, v8
	s_and_saveexec_b64 s[12:13], vcc
	s_cbranch_execz .LBB0_41
; %bb.38:
	v_lshrrev_b32_e32 v8, 11, v7
	v_and_b32_e32 v8, 0xfffc, v8
	global_load_dword v8, v8, s[0:1]
	v_lshrrev_b32_e32 v9, 8, v7
	s_waitcnt vmcnt(0)
	v_lshrrev_b32_e32 v8, v9, v8
	v_and_b32_e32 v8, 1, v8
	v_cmp_eq_u32_e32 vcc, 1, v8
	s_and_saveexec_b64 s[14:15], vcc
	s_cbranch_execz .LBB0_40
; %bb.39:
	v_lshrrev_b32_e32 v8, 5, v7
	v_and_b32_e32 v8, 0x7fffff8, v8
	global_load_dwordx2 v[8:9], v8, s[8:9]
	v_mov_b32_e32 v10, 0
	s_waitcnt vmcnt(0)
	v_and_b32_e32 v11, 0xfffff, v8
	v_alignbit_b32 v8, v9, v8, 24
	v_mul_u32_u24_sdwa v11, v11, v7 dst_sel:DWORD dst_unused:UNUSED_PAD src0_sel:DWORD src1_sel:BYTE_0
	v_mul_u32_u24_sdwa v9, v8, v7 dst_sel:DWORD dst_unused:UNUSED_PAD src0_sel:WORD_0 src1_sel:BYTE_0
	v_lshlrev_b64 v[7:8], 24, v[9:10]
	v_add_co_u32_e32 v1, vcc, v1, v11
	v_addc_co_u32_e32 v2, vcc, 0, v2, vcc
	v_add_co_u32_e32 v1, vcc, v1, v7
	v_addc_co_u32_e32 v2, vcc, v2, v8, vcc
.LBB0_40:
	s_or_b64 exec, exec, s[14:15]
.LBB0_41:
	s_or_b64 exec, exec, s[12:13]
.LBB0_42:
	s_or_b64 exec, exec, s[2:3]
	global_load_dword v5, v[5:6], off offset:28
	s_load_dwordx2 s[2:3], s[4:5], 0x18
	s_waitcnt vmcnt(0)
	v_cmp_ne_u32_e32 vcc, -1, v5
	s_and_saveexec_b64 s[12:13], vcc
	s_cbranch_execz .LBB0_48
; %bb.43:
	s_mov_b32 s7, 0xfffc
	v_and_b32_sdwa v6, v5, s7 dst_sel:DWORD dst_unused:UNUSED_PAD src0_sel:WORD_1 src1_sel:DWORD
	global_load_dword v6, v6, s[0:1]
	v_lshrrev_b32_e32 v7, 13, v5
	s_waitcnt vmcnt(0)
	v_lshrrev_b32_e32 v6, v7, v6
	v_and_b32_e32 v6, 1, v6
	v_cmp_eq_u32_e32 vcc, 1, v6
	s_and_saveexec_b64 s[14:15], vcc
	s_cbranch_execz .LBB0_47
; %bb.44:
	v_lshrrev_b32_e32 v6, 11, v5
	v_and_b32_e32 v6, 0xfffc, v6
	global_load_dword v6, v6, s[0:1]
	v_lshrrev_b32_e32 v7, 8, v5
	s_waitcnt vmcnt(0)
	v_lshrrev_b32_e32 v6, v7, v6
	v_and_b32_e32 v6, 1, v6
	v_cmp_eq_u32_e32 vcc, 1, v6
	s_and_saveexec_b64 s[16:17], vcc
	s_cbranch_execz .LBB0_46
; %bb.45:
	v_lshrrev_b32_e32 v6, 5, v5
	v_and_b32_e32 v6, 0x7fffff8, v6
	global_load_dwordx2 v[6:7], v6, s[8:9]
	v_mov_b32_e32 v8, 0
	s_waitcnt vmcnt(0)
	v_and_b32_e32 v9, 0xfffff, v6
	v_alignbit_b32 v6, v7, v6, 24
	v_mul_u32_u24_sdwa v9, v9, v5 dst_sel:DWORD dst_unused:UNUSED_PAD src0_sel:DWORD src1_sel:BYTE_0
	v_mul_u32_u24_sdwa v7, v6, v5 dst_sel:DWORD dst_unused:UNUSED_PAD src0_sel:WORD_0 src1_sel:BYTE_0
	v_lshlrev_b64 v[5:6], 24, v[7:8]
	v_add_co_u32_e32 v1, vcc, v1, v9
	v_addc_co_u32_e32 v2, vcc, 0, v2, vcc
	v_add_co_u32_e32 v1, vcc, v1, v5
	v_addc_co_u32_e32 v2, vcc, v2, v6, vcc
.LBB0_46:
	s_or_b64 exec, exec, s[16:17]
.LBB0_47:
	s_or_b64 exec, exec, s[14:15]
.LBB0_48:
	s_or_b64 exec, exec, s[12:13]
	s_waitcnt lgkmcnt(0)
	v_mov_b32_e32 v5, s11
	v_add_co_u32_e32 v3, vcc, s10, v3
	v_addc_co_u32_e32 v4, vcc, v5, v4, vcc
	global_load_dword v5, v[3:4], off
	s_waitcnt vmcnt(0)
	v_cmp_ne_u32_e32 vcc, -1, v5
	s_and_saveexec_b64 s[8:9], vcc
	s_cbranch_execz .LBB0_54
; %bb.49:
	s_mov_b32 s7, 0xfffc
	v_and_b32_sdwa v6, v5, s7 dst_sel:DWORD dst_unused:UNUSED_PAD src0_sel:WORD_1 src1_sel:DWORD
	global_load_dword v6, v6, s[0:1]
	v_lshrrev_b32_e32 v7, 13, v5
	s_waitcnt vmcnt(0)
	v_lshrrev_b32_e32 v6, v7, v6
	v_and_b32_e32 v6, 1, v6
	v_cmp_eq_u32_e32 vcc, 1, v6
	s_and_saveexec_b64 s[10:11], vcc
	s_cbranch_execz .LBB0_53
; %bb.50:
	v_lshrrev_b32_e32 v6, 11, v5
	v_and_b32_e32 v6, 0xfffc, v6
	global_load_dword v6, v6, s[0:1]
	v_lshrrev_b32_e32 v7, 8, v5
	s_waitcnt vmcnt(0)
	v_lshrrev_b32_e32 v6, v7, v6
	v_and_b32_e32 v6, 1, v6
	v_cmp_eq_u32_e32 vcc, 1, v6
	s_and_saveexec_b64 s[12:13], vcc
	s_cbranch_execz .LBB0_52
; %bb.51:
	v_lshrrev_b32_e32 v6, 5, v5
	v_and_b32_e32 v6, 0x7fffff8, v6
	global_load_dwordx2 v[6:7], v6, s[2:3]
	v_mov_b32_e32 v8, 0
	s_waitcnt vmcnt(0)
	v_and_b32_e32 v9, 0xfffff, v6
	v_alignbit_b32 v6, v7, v6, 24
	v_mul_u32_u24_sdwa v9, v9, v5 dst_sel:DWORD dst_unused:UNUSED_PAD src0_sel:DWORD src1_sel:BYTE_0
	v_mul_u32_u24_sdwa v7, v6, v5 dst_sel:DWORD dst_unused:UNUSED_PAD src0_sel:WORD_0 src1_sel:BYTE_0
	v_lshlrev_b64 v[5:6], 24, v[7:8]
	v_add_co_u32_e32 v1, vcc, v1, v9
	v_addc_co_u32_e32 v2, vcc, 0, v2, vcc
	v_add_co_u32_e32 v1, vcc, v1, v5
	v_addc_co_u32_e32 v2, vcc, v2, v6, vcc
.LBB0_52:
	s_or_b64 exec, exec, s[12:13]
.LBB0_53:
	s_or_b64 exec, exec, s[10:11]
.LBB0_54:
	s_or_b64 exec, exec, s[8:9]
	global_load_dword v5, v[3:4], off offset:4
	s_waitcnt vmcnt(0)
	v_cmp_ne_u32_e32 vcc, -1, v5
	s_and_saveexec_b64 s[8:9], vcc
	s_cbranch_execz .LBB0_60
; %bb.55:
	s_mov_b32 s7, 0xfffc
	v_and_b32_sdwa v6, v5, s7 dst_sel:DWORD dst_unused:UNUSED_PAD src0_sel:WORD_1 src1_sel:DWORD
	global_load_dword v6, v6, s[0:1]
	v_lshrrev_b32_e32 v7, 13, v5
	s_waitcnt vmcnt(0)
	v_lshrrev_b32_e32 v6, v7, v6
	v_and_b32_e32 v6, 1, v6
	v_cmp_eq_u32_e32 vcc, 1, v6
	s_and_saveexec_b64 s[10:11], vcc
	s_cbranch_execz .LBB0_59
; %bb.56:
	v_lshrrev_b32_e32 v6, 11, v5
	v_and_b32_e32 v6, 0xfffc, v6
	global_load_dword v6, v6, s[0:1]
	v_lshrrev_b32_e32 v7, 8, v5
	s_waitcnt vmcnt(0)
	v_lshrrev_b32_e32 v6, v7, v6
	v_and_b32_e32 v6, 1, v6
	v_cmp_eq_u32_e32 vcc, 1, v6
	s_and_saveexec_b64 s[12:13], vcc
	s_cbranch_execz .LBB0_58
; %bb.57:
	v_lshrrev_b32_e32 v6, 5, v5
	v_and_b32_e32 v6, 0x7fffff8, v6
	global_load_dwordx2 v[6:7], v6, s[2:3]
	v_mov_b32_e32 v8, 0
	s_waitcnt vmcnt(0)
	v_and_b32_e32 v9, 0xfffff, v6
	v_alignbit_b32 v6, v7, v6, 24
	v_mul_u32_u24_sdwa v9, v9, v5 dst_sel:DWORD dst_unused:UNUSED_PAD src0_sel:DWORD src1_sel:BYTE_0
	v_mul_u32_u24_sdwa v7, v6, v5 dst_sel:DWORD dst_unused:UNUSED_PAD src0_sel:WORD_0 src1_sel:BYTE_0
	v_lshlrev_b64 v[5:6], 24, v[7:8]
	v_add_co_u32_e32 v1, vcc, v1, v9
	v_addc_co_u32_e32 v2, vcc, 0, v2, vcc
	v_add_co_u32_e32 v1, vcc, v1, v5
	v_addc_co_u32_e32 v2, vcc, v2, v6, vcc
.LBB0_58:
	s_or_b64 exec, exec, s[12:13]
.LBB0_59:
	s_or_b64 exec, exec, s[10:11]
.LBB0_60:
	s_or_b64 exec, exec, s[8:9]
	global_load_dword v5, v[3:4], off offset:8
	;; [unrolled: 48-line block ×7, first 2 shown]
	s_waitcnt vmcnt(0)
	v_cmp_ne_u32_e32 vcc, -1, v3
	s_and_saveexec_b64 s[8:9], vcc
	s_cbranch_execz .LBB0_96
; %bb.91:
	s_mov_b32 s7, 0xfffc
	v_and_b32_sdwa v4, v3, s7 dst_sel:DWORD dst_unused:UNUSED_PAD src0_sel:WORD_1 src1_sel:DWORD
	global_load_dword v4, v4, s[0:1]
	v_lshrrev_b32_e32 v5, 13, v3
	s_waitcnt vmcnt(0)
	v_lshrrev_b32_e32 v4, v5, v4
	v_and_b32_e32 v4, 1, v4
	v_cmp_eq_u32_e32 vcc, 1, v4
	s_and_saveexec_b64 s[10:11], vcc
	s_cbranch_execz .LBB0_95
; %bb.92:
	v_lshrrev_b32_e32 v4, 11, v3
	v_and_b32_e32 v4, 0xfffc, v4
	global_load_dword v4, v4, s[0:1]
	v_lshrrev_b32_e32 v5, 8, v3
	s_waitcnt vmcnt(0)
	v_lshrrev_b32_e32 v4, v5, v4
	v_and_b32_e32 v4, 1, v4
	v_cmp_eq_u32_e32 vcc, 1, v4
	s_and_saveexec_b64 s[0:1], vcc
	s_cbranch_execz .LBB0_94
; %bb.93:
	v_lshrrev_b32_e32 v4, 5, v3
	v_and_b32_e32 v4, 0x7fffff8, v4
	global_load_dwordx2 v[4:5], v4, s[2:3]
	v_mov_b32_e32 v6, 0
	s_waitcnt vmcnt(0)
	v_and_b32_e32 v7, 0xfffff, v4
	v_alignbit_b32 v4, v5, v4, 24
	v_mul_u32_u24_sdwa v7, v7, v3 dst_sel:DWORD dst_unused:UNUSED_PAD src0_sel:DWORD src1_sel:BYTE_0
	v_mul_u32_u24_sdwa v5, v4, v3 dst_sel:DWORD dst_unused:UNUSED_PAD src0_sel:WORD_0 src1_sel:BYTE_0
	v_lshlrev_b64 v[3:4], 24, v[5:6]
	v_add_co_u32_e32 v1, vcc, v1, v7
	v_addc_co_u32_e32 v2, vcc, 0, v2, vcc
	v_add_co_u32_e32 v1, vcc, v1, v3
	v_addc_co_u32_e32 v2, vcc, v2, v4, vcc
.LBB0_94:
	s_or_b64 exec, exec, s[0:1]
.LBB0_95:
	s_or_b64 exec, exec, s[10:11]
.LBB0_96:
	s_or_b64 exec, exec, s[8:9]
	v_lshlrev_b32_e32 v3, 3, v0
	s_mov_b32 s7, 0
	v_cmp_eq_u32_e32 vcc, 0, v0
	ds_write_b64 v3, v[1:2]
	s_waitcnt lgkmcnt(0)
	s_barrier
	s_and_saveexec_b64 s[0:1], vcc
	s_cbranch_execz .LBB0_98
; %bb.97:
	v_mov_b32_e32 v16, 0
	ds_read_b128 v[0:3], v16
	ds_read_b128 v[4:7], v16 offset:16
	ds_read_b128 v[8:11], v16 offset:32
	;; [unrolled: 1-line block ×3, first 2 shown]
	s_load_dwordx4 s[0:3], s[4:5], 0x28
	s_waitcnt lgkmcnt(0)
	v_add_co_u32_e32 v0, vcc, v2, v0
	v_addc_co_u32_e32 v1, vcc, v3, v1, vcc
	v_add_co_u32_e32 v0, vcc, v0, v4
	v_addc_co_u32_e32 v1, vcc, v1, v5, vcc
	;; [unrolled: 2-line block ×6, first 2 shown]
	s_lshl_b64 s[4:5], s[6:7], 2
	v_add_co_u32_e32 v0, vcc, v0, v14
	s_add_u32 s0, s0, s4
	v_addc_co_u32_e32 v1, vcc, v1, v15, vcc
	s_addc_u32 s1, s1, s5
	global_store_dword v16, v1, s[0:1]
	s_add_u32 s0, s2, s4
	s_addc_u32 s1, s3, s5
	global_store_dword v16, v0, s[0:1]
.LBB0_98:
	s_endpgm
	.section	.rodata,"a",@progbits
	.p2align	6, 0x0
	.amdhsa_kernel _Z7computePKjS0_PKmS2_S0_PjS3_
		.amdhsa_group_segment_fixed_size 64
		.amdhsa_private_segment_fixed_size 0
		.amdhsa_kernarg_size 312
		.amdhsa_user_sgpr_count 6
		.amdhsa_user_sgpr_private_segment_buffer 1
		.amdhsa_user_sgpr_dispatch_ptr 0
		.amdhsa_user_sgpr_queue_ptr 0
		.amdhsa_user_sgpr_kernarg_segment_ptr 1
		.amdhsa_user_sgpr_dispatch_id 0
		.amdhsa_user_sgpr_flat_scratch_init 0
		.amdhsa_user_sgpr_private_segment_size 0
		.amdhsa_uses_dynamic_stack 0
		.amdhsa_system_sgpr_private_segment_wavefront_offset 0
		.amdhsa_system_sgpr_workgroup_id_x 1
		.amdhsa_system_sgpr_workgroup_id_y 0
		.amdhsa_system_sgpr_workgroup_id_z 0
		.amdhsa_system_sgpr_workgroup_info 0
		.amdhsa_system_vgpr_workitem_id 0
		.amdhsa_next_free_vgpr 17
		.amdhsa_next_free_sgpr 18
		.amdhsa_reserve_vcc 1
		.amdhsa_reserve_flat_scratch 0
		.amdhsa_float_round_mode_32 0
		.amdhsa_float_round_mode_16_64 0
		.amdhsa_float_denorm_mode_32 3
		.amdhsa_float_denorm_mode_16_64 3
		.amdhsa_dx10_clamp 1
		.amdhsa_ieee_mode 1
		.amdhsa_fp16_overflow 0
		.amdhsa_exception_fp_ieee_invalid_op 0
		.amdhsa_exception_fp_denorm_src 0
		.amdhsa_exception_fp_ieee_div_zero 0
		.amdhsa_exception_fp_ieee_overflow 0
		.amdhsa_exception_fp_ieee_underflow 0
		.amdhsa_exception_fp_ieee_inexact 0
		.amdhsa_exception_int_div_zero 0
	.end_amdhsa_kernel
	.text
.Lfunc_end0:
	.size	_Z7computePKjS0_PKmS2_S0_PjS3_, .Lfunc_end0-_Z7computePKjS0_PKmS2_S0_PjS3_
                                        ; -- End function
	.set _Z7computePKjS0_PKmS2_S0_PjS3_.num_vgpr, 17
	.set _Z7computePKjS0_PKmS2_S0_PjS3_.num_agpr, 0
	.set _Z7computePKjS0_PKmS2_S0_PjS3_.numbered_sgpr, 18
	.set _Z7computePKjS0_PKmS2_S0_PjS3_.num_named_barrier, 0
	.set _Z7computePKjS0_PKmS2_S0_PjS3_.private_seg_size, 0
	.set _Z7computePKjS0_PKmS2_S0_PjS3_.uses_vcc, 1
	.set _Z7computePKjS0_PKmS2_S0_PjS3_.uses_flat_scratch, 0
	.set _Z7computePKjS0_PKmS2_S0_PjS3_.has_dyn_sized_stack, 0
	.set _Z7computePKjS0_PKmS2_S0_PjS3_.has_recursion, 0
	.set _Z7computePKjS0_PKmS2_S0_PjS3_.has_indirect_call, 0
	.section	.AMDGPU.csdata,"",@progbits
; Kernel info:
; codeLenInByte = 3828
; TotalNumSgprs: 22
; NumVgprs: 17
; ScratchSize: 0
; MemoryBound: 0
; FloatMode: 240
; IeeeMode: 1
; LDSByteSize: 64 bytes/workgroup (compile time only)
; SGPRBlocks: 2
; VGPRBlocks: 4
; NumSGPRsForWavesPerEU: 22
; NumVGPRsForWavesPerEU: 17
; Occupancy: 10
; WaveLimiterHint : 1
; COMPUTE_PGM_RSRC2:SCRATCH_EN: 0
; COMPUTE_PGM_RSRC2:USER_SGPR: 6
; COMPUTE_PGM_RSRC2:TRAP_HANDLER: 0
; COMPUTE_PGM_RSRC2:TGID_X_EN: 1
; COMPUTE_PGM_RSRC2:TGID_Y_EN: 0
; COMPUTE_PGM_RSRC2:TGID_Z_EN: 0
; COMPUTE_PGM_RSRC2:TIDIG_COMP_CNT: 0
	.text
	.protected	_Z9reductionPKmPKjS2_Pm ; -- Begin function _Z9reductionPKmPKjS2_Pm
	.globl	_Z9reductionPKmPKjS2_Pm
	.p2align	8
	.type	_Z9reductionPKmPKjS2_Pm,@function
_Z9reductionPKmPKjS2_Pm:                ; @_Z9reductionPKmPKjS2_Pm
; %bb.0:
	s_load_dword s2, s[4:5], 0x2c
	s_load_dwordx2 s[0:1], s[4:5], 0x0
	s_load_dwordx2 s[8:9], s[4:5], 0x18
	s_waitcnt lgkmcnt(0)
	s_and_b32 s2, s2, 0xffff
	s_mul_i32 s6, s6, s2
	v_add_u32_e32 v0, s6, v0
	v_ashrrev_i32_e32 v1, 31, v0
	v_lshlrev_b64 v[0:1], 3, v[0:1]
	v_mov_b32_e32 v3, s1
	v_add_co_u32_e32 v2, vcc, s0, v0
	v_addc_co_u32_e32 v3, vcc, v3, v1, vcc
	global_load_dwordx2 v[5:6], v[2:3], off
	v_mov_b32_e32 v2, 0
	v_mov_b32_e32 v3, 0
	s_waitcnt vmcnt(0)
	v_cmp_le_u32_e32 vcc, v6, v5
	s_and_saveexec_b64 s[6:7], vcc
	s_cbranch_execz .LBB1_8
; %bb.1:
	s_load_dwordx4 s[0:3], s[4:5], 0x8
	v_add_u32_e32 v4, 1, v5
	v_add_u32_e32 v5, 1, v6
	v_max_u32_e32 v2, v4, v5
	v_sub_u32_e32 v7, v2, v6
	v_mov_b32_e32 v2, 0
	v_mov_b32_e32 v3, 0
	v_cmp_lt_u32_e32 vcc, v5, v4
	s_and_saveexec_b64 s[4:5], vcc
	s_cbranch_execz .LBB1_5
; %bb.2:
	v_and_b32_e32 v9, -2, v7
	v_mov_b32_e32 v2, 0
	v_add_u32_e32 v8, v9, v6
	s_mov_b64 s[10:11], 0
	v_mov_b32_e32 v3, 0
	v_mov_b32_e32 v5, 0
	s_waitcnt lgkmcnt(0)
	v_mov_b32_e32 v10, s1
	v_mov_b32_e32 v11, s3
	;; [unrolled: 1-line block ×3, first 2 shown]
.LBB1_3:                                ; =>This Inner Loop Header: Depth=1
	v_lshlrev_b64 v[12:13], 2, v[4:5]
	v_add_u32_e32 v14, 1, v4
	v_add_co_u32_e32 v16, vcc, s0, v12
	v_mov_b32_e32 v15, v5
	v_addc_co_u32_e32 v17, vcc, v10, v13, vcc
	v_lshlrev_b64 v[14:15], 2, v[14:15]
	v_add_co_u32_e32 v12, vcc, s2, v12
	v_addc_co_u32_e32 v13, vcc, v11, v13, vcc
	global_load_dword v6, v[16:17], off
	global_load_dword v18, v[12:13], off
	v_add_co_u32_e32 v12, vcc, s0, v14
	v_addc_co_u32_e32 v13, vcc, v10, v15, vcc
	v_add_co_u32_e32 v14, vcc, s2, v14
	v_addc_co_u32_e32 v15, vcc, v11, v15, vcc
	global_load_dword v16, v[14:15], off
	global_load_dword v17, v[12:13], off
	v_add_u32_e32 v9, -2, v9
	v_cmp_eq_u32_e32 vcc, 0, v9
	s_or_b64 s[10:11], vcc, s[10:11]
	v_add_u32_e32 v4, 2, v4
	s_waitcnt vmcnt(2)
	v_add_co_u32_e32 v2, vcc, v18, v2
	v_addc_co_u32_e32 v3, vcc, v6, v3, vcc
	s_waitcnt vmcnt(1)
	v_add_co_u32_e32 v2, vcc, v16, v2
	s_waitcnt vmcnt(0)
	v_addc_co_u32_e32 v3, vcc, v17, v3, vcc
	s_andn2_b64 exec, exec, s[10:11]
	s_cbranch_execnz .LBB1_3
; %bb.4:
	s_or_b64 exec, exec, s[10:11]
	v_mov_b32_e32 v6, v8
.LBB1_5:
	s_or_b64 exec, exec, s[4:5]
	v_and_b32_e32 v4, 1, v7
	v_cmp_eq_u32_e32 vcc, 1, v4
	s_and_saveexec_b64 s[4:5], vcc
	s_cbranch_execz .LBB1_7
; %bb.6:
	v_mov_b32_e32 v5, 0
	v_mov_b32_e32 v4, v6
	v_lshlrev_b64 v[4:5], 2, v[4:5]
	s_waitcnt lgkmcnt(0)
	v_mov_b32_e32 v7, s3
	v_add_co_u32_e32 v6, vcc, s2, v4
	v_addc_co_u32_e32 v7, vcc, v7, v5, vcc
	v_mov_b32_e32 v8, s1
	v_add_co_u32_e32 v4, vcc, s0, v4
	global_load_dword v6, v[6:7], off
	v_addc_co_u32_e32 v5, vcc, v8, v5, vcc
	global_load_dword v4, v[4:5], off
	s_waitcnt vmcnt(1)
	v_add_co_u32_e32 v2, vcc, v6, v2
	s_waitcnt vmcnt(0)
	v_addc_co_u32_e32 v3, vcc, v4, v3, vcc
.LBB1_7:
	s_or_b64 exec, exec, s[4:5]
.LBB1_8:
	s_or_b64 exec, exec, s[6:7]
	v_mov_b32_e32 v4, s9
	v_add_co_u32_e32 v0, vcc, s8, v0
	v_addc_co_u32_e32 v1, vcc, v4, v1, vcc
	global_store_dwordx2 v[0:1], v[2:3], off
	s_endpgm
	.section	.rodata,"a",@progbits
	.p2align	6, 0x0
	.amdhsa_kernel _Z9reductionPKmPKjS2_Pm
		.amdhsa_group_segment_fixed_size 0
		.amdhsa_private_segment_fixed_size 0
		.amdhsa_kernarg_size 288
		.amdhsa_user_sgpr_count 6
		.amdhsa_user_sgpr_private_segment_buffer 1
		.amdhsa_user_sgpr_dispatch_ptr 0
		.amdhsa_user_sgpr_queue_ptr 0
		.amdhsa_user_sgpr_kernarg_segment_ptr 1
		.amdhsa_user_sgpr_dispatch_id 0
		.amdhsa_user_sgpr_flat_scratch_init 0
		.amdhsa_user_sgpr_private_segment_size 0
		.amdhsa_uses_dynamic_stack 0
		.amdhsa_system_sgpr_private_segment_wavefront_offset 0
		.amdhsa_system_sgpr_workgroup_id_x 1
		.amdhsa_system_sgpr_workgroup_id_y 0
		.amdhsa_system_sgpr_workgroup_id_z 0
		.amdhsa_system_sgpr_workgroup_info 0
		.amdhsa_system_vgpr_workitem_id 0
		.amdhsa_next_free_vgpr 19
		.amdhsa_next_free_sgpr 12
		.amdhsa_reserve_vcc 1
		.amdhsa_reserve_flat_scratch 0
		.amdhsa_float_round_mode_32 0
		.amdhsa_float_round_mode_16_64 0
		.amdhsa_float_denorm_mode_32 3
		.amdhsa_float_denorm_mode_16_64 3
		.amdhsa_dx10_clamp 1
		.amdhsa_ieee_mode 1
		.amdhsa_fp16_overflow 0
		.amdhsa_exception_fp_ieee_invalid_op 0
		.amdhsa_exception_fp_denorm_src 0
		.amdhsa_exception_fp_ieee_div_zero 0
		.amdhsa_exception_fp_ieee_overflow 0
		.amdhsa_exception_fp_ieee_underflow 0
		.amdhsa_exception_fp_ieee_inexact 0
		.amdhsa_exception_int_div_zero 0
	.end_amdhsa_kernel
	.text
.Lfunc_end1:
	.size	_Z9reductionPKmPKjS2_Pm, .Lfunc_end1-_Z9reductionPKmPKjS2_Pm
                                        ; -- End function
	.set _Z9reductionPKmPKjS2_Pm.num_vgpr, 19
	.set _Z9reductionPKmPKjS2_Pm.num_agpr, 0
	.set _Z9reductionPKmPKjS2_Pm.numbered_sgpr, 12
	.set _Z9reductionPKmPKjS2_Pm.num_named_barrier, 0
	.set _Z9reductionPKmPKjS2_Pm.private_seg_size, 0
	.set _Z9reductionPKmPKjS2_Pm.uses_vcc, 1
	.set _Z9reductionPKmPKjS2_Pm.uses_flat_scratch, 0
	.set _Z9reductionPKmPKjS2_Pm.has_dyn_sized_stack, 0
	.set _Z9reductionPKmPKjS2_Pm.has_recursion, 0
	.set _Z9reductionPKmPKjS2_Pm.has_indirect_call, 0
	.section	.AMDGPU.csdata,"",@progbits
; Kernel info:
; codeLenInByte = 460
; TotalNumSgprs: 16
; NumVgprs: 19
; ScratchSize: 0
; MemoryBound: 0
; FloatMode: 240
; IeeeMode: 1
; LDSByteSize: 0 bytes/workgroup (compile time only)
; SGPRBlocks: 1
; VGPRBlocks: 4
; NumSGPRsForWavesPerEU: 16
; NumVGPRsForWavesPerEU: 19
; Occupancy: 10
; WaveLimiterHint : 0
; COMPUTE_PGM_RSRC2:SCRATCH_EN: 0
; COMPUTE_PGM_RSRC2:USER_SGPR: 6
; COMPUTE_PGM_RSRC2:TRAP_HANDLER: 0
; COMPUTE_PGM_RSRC2:TGID_X_EN: 1
; COMPUTE_PGM_RSRC2:TGID_Y_EN: 0
; COMPUTE_PGM_RSRC2:TGID_Z_EN: 0
; COMPUTE_PGM_RSRC2:TIDIG_COMP_CNT: 0
	.section	.AMDGPU.gpr_maximums,"",@progbits
	.set amdgpu.max_num_vgpr, 0
	.set amdgpu.max_num_agpr, 0
	.set amdgpu.max_num_sgpr, 0
	.section	.AMDGPU.csdata,"",@progbits
	.type	__hip_cuid_dbadc9133c333409,@object ; @__hip_cuid_dbadc9133c333409
	.section	.bss,"aw",@nobits
	.globl	__hip_cuid_dbadc9133c333409
__hip_cuid_dbadc9133c333409:
	.byte	0                               ; 0x0
	.size	__hip_cuid_dbadc9133c333409, 1

	.ident	"AMD clang version 22.0.0git (https://github.com/RadeonOpenCompute/llvm-project roc-7.2.4 26084 f58b06dce1f9c15707c5f808fd002e18c2accf7e)"
	.section	".note.GNU-stack","",@progbits
	.addrsig
	.addrsig_sym __hip_cuid_dbadc9133c333409
	.amdgpu_metadata
---
amdhsa.kernels:
  - .args:
      - .actual_access:  read_only
        .address_space:  global
        .offset:         0
        .size:           8
        .value_kind:     global_buffer
      - .actual_access:  read_only
        .address_space:  global
        .offset:         8
        .size:           8
        .value_kind:     global_buffer
      - .actual_access:  read_only
        .address_space:  global
        .offset:         16
        .size:           8
        .value_kind:     global_buffer
      - .actual_access:  read_only
        .address_space:  global
        .offset:         24
        .size:           8
        .value_kind:     global_buffer
      - .actual_access:  read_only
        .address_space:  global
        .offset:         32
        .size:           8
        .value_kind:     global_buffer
      - .actual_access:  write_only
        .address_space:  global
        .offset:         40
        .size:           8
        .value_kind:     global_buffer
      - .actual_access:  write_only
        .address_space:  global
        .offset:         48
        .size:           8
        .value_kind:     global_buffer
      - .offset:         56
        .size:           4
        .value_kind:     hidden_block_count_x
      - .offset:         60
        .size:           4
        .value_kind:     hidden_block_count_y
      - .offset:         64
        .size:           4
        .value_kind:     hidden_block_count_z
      - .offset:         68
        .size:           2
        .value_kind:     hidden_group_size_x
      - .offset:         70
        .size:           2
        .value_kind:     hidden_group_size_y
      - .offset:         72
        .size:           2
        .value_kind:     hidden_group_size_z
      - .offset:         74
        .size:           2
        .value_kind:     hidden_remainder_x
      - .offset:         76
        .size:           2
        .value_kind:     hidden_remainder_y
      - .offset:         78
        .size:           2
        .value_kind:     hidden_remainder_z
      - .offset:         96
        .size:           8
        .value_kind:     hidden_global_offset_x
      - .offset:         104
        .size:           8
        .value_kind:     hidden_global_offset_y
      - .offset:         112
        .size:           8
        .value_kind:     hidden_global_offset_z
      - .offset:         120
        .size:           2
        .value_kind:     hidden_grid_dims
    .group_segment_fixed_size: 64
    .kernarg_segment_align: 8
    .kernarg_segment_size: 312
    .language:       OpenCL C
    .language_version:
      - 2
      - 0
    .max_flat_workgroup_size: 1024
    .name:           _Z7computePKjS0_PKmS2_S0_PjS3_
    .private_segment_fixed_size: 0
    .sgpr_count:     22
    .sgpr_spill_count: 0
    .symbol:         _Z7computePKjS0_PKmS2_S0_PjS3_.kd
    .uniform_work_group_size: 1
    .uses_dynamic_stack: false
    .vgpr_count:     17
    .vgpr_spill_count: 0
    .wavefront_size: 64
  - .args:
      - .actual_access:  read_only
        .address_space:  global
        .offset:         0
        .size:           8
        .value_kind:     global_buffer
      - .actual_access:  read_only
        .address_space:  global
        .offset:         8
        .size:           8
        .value_kind:     global_buffer
      - .actual_access:  read_only
        .address_space:  global
        .offset:         16
        .size:           8
        .value_kind:     global_buffer
      - .actual_access:  write_only
        .address_space:  global
        .offset:         24
        .size:           8
        .value_kind:     global_buffer
      - .offset:         32
        .size:           4
        .value_kind:     hidden_block_count_x
      - .offset:         36
        .size:           4
        .value_kind:     hidden_block_count_y
      - .offset:         40
        .size:           4
        .value_kind:     hidden_block_count_z
      - .offset:         44
        .size:           2
        .value_kind:     hidden_group_size_x
      - .offset:         46
        .size:           2
        .value_kind:     hidden_group_size_y
      - .offset:         48
        .size:           2
        .value_kind:     hidden_group_size_z
      - .offset:         50
        .size:           2
        .value_kind:     hidden_remainder_x
      - .offset:         52
        .size:           2
        .value_kind:     hidden_remainder_y
      - .offset:         54
        .size:           2
        .value_kind:     hidden_remainder_z
      - .offset:         72
        .size:           8
        .value_kind:     hidden_global_offset_x
      - .offset:         80
        .size:           8
        .value_kind:     hidden_global_offset_y
      - .offset:         88
        .size:           8
        .value_kind:     hidden_global_offset_z
      - .offset:         96
        .size:           2
        .value_kind:     hidden_grid_dims
    .group_segment_fixed_size: 0
    .kernarg_segment_align: 8
    .kernarg_segment_size: 288
    .language:       OpenCL C
    .language_version:
      - 2
      - 0
    .max_flat_workgroup_size: 1024
    .name:           _Z9reductionPKmPKjS2_Pm
    .private_segment_fixed_size: 0
    .sgpr_count:     16
    .sgpr_spill_count: 0
    .symbol:         _Z9reductionPKmPKjS2_Pm.kd
    .uniform_work_group_size: 1
    .uses_dynamic_stack: false
    .vgpr_count:     19
    .vgpr_spill_count: 0
    .wavefront_size: 64
amdhsa.target:   amdgcn-amd-amdhsa--gfx906
amdhsa.version:
  - 1
  - 2
...

	.end_amdgpu_metadata
